;; amdgpu-corpus repo=ROCm/rocFFT kind=compiled arch=gfx906 opt=O3
	.text
	.amdgcn_target "amdgcn-amd-amdhsa--gfx906"
	.amdhsa_code_object_version 6
	.protected	fft_rtc_fwd_len330_factors_11_10_3_wgs_99_tpt_33_sp_op_CI_CI_unitstride_sbrr_R2C_dirReg ; -- Begin function fft_rtc_fwd_len330_factors_11_10_3_wgs_99_tpt_33_sp_op_CI_CI_unitstride_sbrr_R2C_dirReg
	.globl	fft_rtc_fwd_len330_factors_11_10_3_wgs_99_tpt_33_sp_op_CI_CI_unitstride_sbrr_R2C_dirReg
	.p2align	8
	.type	fft_rtc_fwd_len330_factors_11_10_3_wgs_99_tpt_33_sp_op_CI_CI_unitstride_sbrr_R2C_dirReg,@function
fft_rtc_fwd_len330_factors_11_10_3_wgs_99_tpt_33_sp_op_CI_CI_unitstride_sbrr_R2C_dirReg: ; @fft_rtc_fwd_len330_factors_11_10_3_wgs_99_tpt_33_sp_op_CI_CI_unitstride_sbrr_R2C_dirReg
; %bb.0:
	s_load_dwordx4 s[8:11], s[4:5], 0x58
	s_load_dwordx4 s[12:15], s[4:5], 0x0
	;; [unrolled: 1-line block ×3, first 2 shown]
	v_mul_u32_u24_e32 v1, 0x7c2, v0
	v_lshrrev_b32_e32 v1, 16, v1
	v_mad_u64_u32 v[3:4], s[0:1], s6, 3, v[1:2]
	v_mov_b32_e32 v5, 0
	v_mov_b32_e32 v1, 0
	;; [unrolled: 1-line block ×3, first 2 shown]
	s_waitcnt lgkmcnt(0)
	v_cmp_lt_u64_e64 s[0:1], s[14:15], 2
	v_mov_b32_e32 v2, 0
	v_mov_b32_e32 v25, v2
	;; [unrolled: 1-line block ×3, first 2 shown]
	s_and_b64 vcc, exec, s[0:1]
	v_mov_b32_e32 v24, v1
	v_mov_b32_e32 v26, v3
	s_cbranch_vccnz .LBB0_8
; %bb.1:
	s_load_dwordx2 s[0:1], s[4:5], 0x10
	s_add_u32 s2, s18, 8
	s_addc_u32 s3, s19, 0
	s_add_u32 s6, s16, 8
	v_mov_b32_e32 v1, 0
	s_addc_u32 s7, s17, 0
	v_mov_b32_e32 v2, 0
	s_waitcnt lgkmcnt(0)
	s_add_u32 s20, s0, 8
	v_mov_b32_e32 v25, v2
	v_mov_b32_e32 v8, v4
	s_addc_u32 s21, s1, 0
	s_mov_b64 s[22:23], 1
	v_mov_b32_e32 v24, v1
	v_mov_b32_e32 v7, v3
.LBB0_2:                                ; =>This Inner Loop Header: Depth=1
	s_load_dwordx2 s[24:25], s[20:21], 0x0
                                        ; implicit-def: $vgpr26_vgpr27
	s_waitcnt lgkmcnt(0)
	v_or_b32_e32 v6, s25, v8
	v_cmp_ne_u64_e32 vcc, 0, v[5:6]
	s_and_saveexec_b64 s[0:1], vcc
	s_xor_b64 s[26:27], exec, s[0:1]
	s_cbranch_execz .LBB0_4
; %bb.3:                                ;   in Loop: Header=BB0_2 Depth=1
	v_cvt_f32_u32_e32 v4, s24
	v_cvt_f32_u32_e32 v6, s25
	s_sub_u32 s0, 0, s24
	s_subb_u32 s1, 0, s25
	v_mac_f32_e32 v4, 0x4f800000, v6
	v_rcp_f32_e32 v4, v4
	v_mul_f32_e32 v4, 0x5f7ffffc, v4
	v_mul_f32_e32 v6, 0x2f800000, v4
	v_trunc_f32_e32 v6, v6
	v_mac_f32_e32 v4, 0xcf800000, v6
	v_cvt_u32_f32_e32 v6, v6
	v_cvt_u32_f32_e32 v4, v4
	v_mul_lo_u32 v9, s0, v6
	v_mul_hi_u32 v10, s0, v4
	v_mul_lo_u32 v12, s1, v4
	v_mul_lo_u32 v11, s0, v4
	v_add_u32_e32 v9, v10, v9
	v_add_u32_e32 v9, v9, v12
	v_mul_hi_u32 v10, v4, v11
	v_mul_lo_u32 v12, v4, v9
	v_mul_hi_u32 v14, v4, v9
	v_mul_hi_u32 v13, v6, v11
	v_mul_lo_u32 v11, v6, v11
	v_mul_hi_u32 v15, v6, v9
	v_add_co_u32_e32 v10, vcc, v10, v12
	v_addc_co_u32_e32 v12, vcc, 0, v14, vcc
	v_mul_lo_u32 v9, v6, v9
	v_add_co_u32_e32 v10, vcc, v10, v11
	v_addc_co_u32_e32 v10, vcc, v12, v13, vcc
	v_addc_co_u32_e32 v11, vcc, 0, v15, vcc
	v_add_co_u32_e32 v9, vcc, v10, v9
	v_addc_co_u32_e32 v10, vcc, 0, v11, vcc
	v_add_co_u32_e32 v4, vcc, v4, v9
	v_addc_co_u32_e32 v6, vcc, v6, v10, vcc
	v_mul_lo_u32 v9, s0, v6
	v_mul_hi_u32 v10, s0, v4
	v_mul_lo_u32 v11, s1, v4
	v_mul_lo_u32 v12, s0, v4
	v_add_u32_e32 v9, v10, v9
	v_add_u32_e32 v9, v9, v11
	v_mul_lo_u32 v13, v4, v9
	v_mul_hi_u32 v14, v4, v12
	v_mul_hi_u32 v15, v4, v9
	;; [unrolled: 1-line block ×3, first 2 shown]
	v_mul_lo_u32 v12, v6, v12
	v_mul_hi_u32 v10, v6, v9
	v_add_co_u32_e32 v13, vcc, v14, v13
	v_addc_co_u32_e32 v14, vcc, 0, v15, vcc
	v_mul_lo_u32 v9, v6, v9
	v_add_co_u32_e32 v12, vcc, v13, v12
	v_addc_co_u32_e32 v11, vcc, v14, v11, vcc
	v_addc_co_u32_e32 v10, vcc, 0, v10, vcc
	v_add_co_u32_e32 v9, vcc, v11, v9
	v_addc_co_u32_e32 v10, vcc, 0, v10, vcc
	v_add_co_u32_e32 v4, vcc, v4, v9
	v_addc_co_u32_e32 v6, vcc, v6, v10, vcc
	v_mad_u64_u32 v[9:10], s[0:1], v7, v6, 0
	v_mul_hi_u32 v11, v7, v4
	v_add_co_u32_e32 v13, vcc, v11, v9
	v_addc_co_u32_e32 v14, vcc, 0, v10, vcc
	v_mad_u64_u32 v[9:10], s[0:1], v8, v4, 0
	v_mad_u64_u32 v[11:12], s[0:1], v8, v6, 0
	v_add_co_u32_e32 v4, vcc, v13, v9
	v_addc_co_u32_e32 v4, vcc, v14, v10, vcc
	v_addc_co_u32_e32 v6, vcc, 0, v12, vcc
	v_add_co_u32_e32 v4, vcc, v4, v11
	v_addc_co_u32_e32 v6, vcc, 0, v6, vcc
	v_mul_lo_u32 v11, s25, v4
	v_mul_lo_u32 v12, s24, v6
	v_mad_u64_u32 v[9:10], s[0:1], s24, v4, 0
	v_add3_u32 v10, v10, v12, v11
	v_sub_u32_e32 v11, v8, v10
	v_mov_b32_e32 v12, s25
	v_sub_co_u32_e32 v9, vcc, v7, v9
	v_subb_co_u32_e64 v11, s[0:1], v11, v12, vcc
	v_subrev_co_u32_e64 v12, s[0:1], s24, v9
	v_subbrev_co_u32_e64 v11, s[0:1], 0, v11, s[0:1]
	v_cmp_le_u32_e64 s[0:1], s25, v11
	v_cndmask_b32_e64 v13, 0, -1, s[0:1]
	v_cmp_le_u32_e64 s[0:1], s24, v12
	v_cndmask_b32_e64 v12, 0, -1, s[0:1]
	v_cmp_eq_u32_e64 s[0:1], s25, v11
	v_cndmask_b32_e64 v11, v13, v12, s[0:1]
	v_add_co_u32_e64 v12, s[0:1], 2, v4
	v_addc_co_u32_e64 v13, s[0:1], 0, v6, s[0:1]
	v_add_co_u32_e64 v14, s[0:1], 1, v4
	v_addc_co_u32_e64 v15, s[0:1], 0, v6, s[0:1]
	v_subb_co_u32_e32 v10, vcc, v8, v10, vcc
	v_cmp_ne_u32_e64 s[0:1], 0, v11
	v_cmp_le_u32_e32 vcc, s25, v10
	v_cndmask_b32_e64 v11, v15, v13, s[0:1]
	v_cndmask_b32_e64 v13, 0, -1, vcc
	v_cmp_le_u32_e32 vcc, s24, v9
	v_cndmask_b32_e64 v9, 0, -1, vcc
	v_cmp_eq_u32_e32 vcc, s25, v10
	v_cndmask_b32_e32 v9, v13, v9, vcc
	v_cmp_ne_u32_e32 vcc, 0, v9
	v_cndmask_b32_e32 v27, v6, v11, vcc
	v_cndmask_b32_e64 v6, v14, v12, s[0:1]
	v_cndmask_b32_e32 v26, v4, v6, vcc
.LBB0_4:                                ;   in Loop: Header=BB0_2 Depth=1
	s_andn2_saveexec_b64 s[0:1], s[26:27]
	s_cbranch_execz .LBB0_6
; %bb.5:                                ;   in Loop: Header=BB0_2 Depth=1
	v_cvt_f32_u32_e32 v4, s24
	s_sub_i32 s26, 0, s24
	v_mov_b32_e32 v27, v5
	v_rcp_iflag_f32_e32 v4, v4
	v_mul_f32_e32 v4, 0x4f7ffffe, v4
	v_cvt_u32_f32_e32 v4, v4
	v_mul_lo_u32 v6, s26, v4
	v_mul_hi_u32 v6, v4, v6
	v_add_u32_e32 v4, v4, v6
	v_mul_hi_u32 v4, v7, v4
	v_mul_lo_u32 v6, v4, s24
	v_add_u32_e32 v9, 1, v4
	v_sub_u32_e32 v6, v7, v6
	v_subrev_u32_e32 v10, s24, v6
	v_cmp_le_u32_e32 vcc, s24, v6
	v_cndmask_b32_e32 v6, v6, v10, vcc
	v_cndmask_b32_e32 v4, v4, v9, vcc
	v_add_u32_e32 v9, 1, v4
	v_cmp_le_u32_e32 vcc, s24, v6
	v_cndmask_b32_e32 v26, v4, v9, vcc
.LBB0_6:                                ;   in Loop: Header=BB0_2 Depth=1
	s_or_b64 exec, exec, s[0:1]
	v_mul_lo_u32 v4, v27, s24
	v_mul_lo_u32 v6, v26, s25
	v_mad_u64_u32 v[9:10], s[0:1], v26, s24, 0
	s_load_dwordx2 s[0:1], s[6:7], 0x0
	s_load_dwordx2 s[24:25], s[2:3], 0x0
	v_add3_u32 v4, v10, v6, v4
	v_sub_co_u32_e32 v6, vcc, v7, v9
	v_subb_co_u32_e32 v4, vcc, v8, v4, vcc
	s_waitcnt lgkmcnt(0)
	v_mul_lo_u32 v7, s0, v4
	v_mul_lo_u32 v8, s1, v6
	v_mad_u64_u32 v[1:2], s[0:1], s0, v6, v[1:2]
	s_add_u32 s22, s22, 1
	s_addc_u32 s23, s23, 0
	s_add_u32 s2, s2, 8
	v_mul_lo_u32 v4, s24, v4
	v_mul_lo_u32 v9, s25, v6
	v_mad_u64_u32 v[24:25], s[0:1], s24, v6, v[24:25]
	v_add3_u32 v2, v8, v2, v7
	s_addc_u32 s3, s3, 0
	v_mov_b32_e32 v6, s14
	s_add_u32 s6, s6, 8
	v_mov_b32_e32 v7, s15
	s_addc_u32 s7, s7, 0
	v_cmp_ge_u64_e32 vcc, s[22:23], v[6:7]
	s_add_u32 s20, s20, 8
	v_add3_u32 v25, v9, v25, v4
	s_addc_u32 s21, s21, 0
	s_cbranch_vccnz .LBB0_8
; %bb.7:                                ;   in Loop: Header=BB0_2 Depth=1
	v_mov_b32_e32 v7, v26
	v_mov_b32_e32 v8, v27
	s_branch .LBB0_2
.LBB0_8:
	s_mov_b32 s2, 0xaaaaaaab
	s_load_dwordx2 s[0:1], s[4:5], 0x28
	v_mul_hi_u32 v4, v3, s2
	s_lshl_b64 s[6:7], s[14:15], 3
	s_add_u32 s2, s18, s6
	s_addc_u32 s3, s19, s7
	v_lshrrev_b32_e32 v4, 1, v4
	v_lshl_add_u32 v4, v4, 1, v4
	s_waitcnt lgkmcnt(0)
	v_cmp_gt_u64_e32 vcc, s[0:1], v[26:27]
	v_cmp_le_u64_e64 s[0:1], s[0:1], v[26:27]
	v_sub_u32_e32 v3, v3, v4
                                        ; implicit-def: $vgpr28
	s_and_saveexec_b64 s[4:5], s[0:1]
	s_xor_b64 s[0:1], exec, s[4:5]
; %bb.9:
	s_mov_b32 s4, 0x7c1f07d
	v_mul_hi_u32 v1, v0, s4
	v_mul_u32_u24_e32 v1, 33, v1
	v_sub_u32_e32 v28, v0, v1
                                        ; implicit-def: $vgpr0
                                        ; implicit-def: $vgpr1_vgpr2
; %bb.10:
	s_or_saveexec_b64 s[4:5], s[0:1]
	v_mul_u32_u24_e32 v35, 0x14b, v3
	v_lshlrev_b32_e32 v37, 3, v35
	s_xor_b64 exec, exec, s[4:5]
	s_cbranch_execz .LBB0_12
; %bb.11:
	s_add_u32 s0, s16, s6
	s_addc_u32 s1, s17, s7
	s_load_dwordx2 s[0:1], s[0:1], 0x0
	s_mov_b32 s6, 0x7c1f07d
	v_mul_hi_u32 v5, v0, s6
	s_waitcnt lgkmcnt(0)
	v_mul_lo_u32 v6, s1, v26
	v_mul_lo_u32 v7, s0, v27
	v_mad_u64_u32 v[3:4], s[0:1], s0, v26, 0
	v_mul_u32_u24_e32 v5, 33, v5
	v_sub_u32_e32 v28, v0, v5
	v_add3_u32 v4, v4, v7, v6
	v_lshlrev_b64 v[3:4], 3, v[3:4]
	v_mov_b32_e32 v0, s9
	v_add_co_u32_e64 v3, s[0:1], s8, v3
	v_addc_co_u32_e64 v4, s[0:1], v0, v4, s[0:1]
	v_lshlrev_b64 v[0:1], 3, v[1:2]
	v_lshlrev_b32_e32 v22, 3, v28
	v_add_co_u32_e64 v0, s[0:1], v3, v0
	v_addc_co_u32_e64 v1, s[0:1], v4, v1, s[0:1]
	v_add_co_u32_e64 v0, s[0:1], v0, v22
	v_addc_co_u32_e64 v1, s[0:1], 0, v1, s[0:1]
	global_load_dwordx2 v[2:3], v[0:1], off
	global_load_dwordx2 v[4:5], v[0:1], off offset:264
	global_load_dwordx2 v[6:7], v[0:1], off offset:528
	;; [unrolled: 1-line block ×9, first 2 shown]
	v_add3_u32 v0, 0, v37, v22
	v_add_u32_e32 v1, 0x800, v0
	s_waitcnt vmcnt(8)
	ds_write2_b64 v0, v[2:3], v[4:5] offset1:33
	s_waitcnt vmcnt(6)
	ds_write2_b64 v0, v[6:7], v[8:9] offset0:66 offset1:99
	s_waitcnt vmcnt(4)
	ds_write2_b64 v0, v[10:11], v[12:13] offset0:132 offset1:165
	;; [unrolled: 2-line block ×4, first 2 shown]
.LBB0_12:
	s_or_b64 exec, exec, s[4:5]
	v_lshlrev_b32_e32 v33, 3, v28
	v_add_u32_e32 v36, 0, v33
	v_add_u32_e32 v34, v36, v37
	;; [unrolled: 1-line block ×3, first 2 shown]
	s_waitcnt lgkmcnt(0)
	s_barrier
	ds_read2_b64 v[12:15], v34 offset0:30 offset1:60
	ds_read2_b64 v[4:7], v0 offset0:14 offset1:44
	v_add_u32_e32 v31, 0, v37
	v_add_u32_e32 v32, v31, v33
	ds_read_b64 v[0:1], v32
	ds_read2_b64 v[16:19], v34 offset0:90 offset1:120
	ds_read2_b64 v[8:11], v34 offset0:210 offset1:240
	s_waitcnt lgkmcnt(3)
	v_sub_f32_e32 v52, v13, v7
	v_mul_f32_e32 v48, 0xbf0a6770, v52
	v_sub_f32_e32 v53, v15, v5
	v_add_f32_e32 v38, v6, v12
	v_mov_b32_e32 v2, v48
	v_mul_f32_e32 v49, 0xbf68dda4, v53
	v_sub_f32_e32 v56, v12, v6
	v_fmac_f32_e32 v2, 0x3f575c64, v38
	v_add_f32_e32 v39, v4, v14
	v_mov_b32_e32 v3, v49
	v_add_f32_e32 v40, v7, v13
	s_mov_b32 s6, 0x3f575c64
	s_waitcnt lgkmcnt(2)
	v_add_f32_e32 v2, v0, v2
	v_fmac_f32_e32 v3, 0x3ed4b147, v39
	v_mul_f32_e32 v50, 0xbf0a6770, v56
	v_sub_f32_e32 v60, v14, v4
	v_add_f32_e32 v2, v3, v2
	v_fma_f32 v3, v40, s6, -v50
	s_mov_b32 s7, 0x3ed4b147
	v_add_f32_e32 v42, v5, v15
	v_mul_f32_e32 v54, 0xbf68dda4, v60
	s_waitcnt lgkmcnt(0)
	v_sub_f32_e32 v58, v17, v11
	v_add_f32_e32 v3, v1, v3
	v_fma_f32 v20, v42, s7, -v54
	v_mul_f32_e32 v51, 0xbf7d64f0, v58
	v_add_f32_e32 v3, v20, v3
	v_add_f32_e32 v41, v10, v16
	v_mov_b32_e32 v20, v51
	v_sub_f32_e32 v64, v16, v10
	v_fmac_f32_e32 v20, 0xbe11bafb, v41
	s_mov_b32 s8, 0xbe11bafb
	v_add_f32_e32 v44, v11, v17
	v_mul_f32_e32 v57, 0xbf7d64f0, v64
	v_sub_f32_e32 v62, v19, v9
	v_add_f32_e32 v2, v20, v2
	v_fma_f32 v20, v44, s8, -v57
	v_mul_f32_e32 v55, 0xbf4178ce, v62
	v_add_f32_e32 v3, v20, v3
	v_add_f32_e32 v43, v8, v18
	v_mov_b32_e32 v20, v55
	v_fmac_f32_e32 v20, 0xbf27a4f4, v43
	v_add_f32_e32 v2, v20, v2
	ds_read2_b64 v[20:23], v34 offset0:150 offset1:180
	v_sub_f32_e32 v66, v18, v8
	s_mov_b32 s9, 0xbf27a4f4
	v_add_f32_e32 v46, v9, v19
	v_mul_f32_e32 v61, 0xbf4178ce, v66
	s_waitcnt lgkmcnt(0)
	v_sub_f32_e32 v65, v21, v23
	v_fma_f32 v29, v46, s9, -v61
	v_mul_f32_e32 v59, 0xbe903f40, v65
	v_sub_f32_e32 v67, v20, v22
	v_add_f32_e32 v3, v29, v3
	s_mov_b32 s14, 0xbf75a155
	v_add_f32_e32 v45, v22, v20
	v_mov_b32_e32 v29, v59
	v_add_f32_e32 v47, v23, v21
	v_mul_f32_e32 v63, 0xbe903f40, v67
	v_fmac_f32_e32 v29, 0xbf75a155, v45
	v_fma_f32 v30, v47, s14, -v63
	v_add_f32_e32 v2, v29, v2
	v_add_f32_e32 v3, v30, v3
	v_cmp_gt_u32_e64 s[0:1], 30, v28
	s_barrier
	s_and_saveexec_b64 s[4:5], s[0:1]
	s_cbranch_execz .LBB0_14
; %bb.13:
	v_mul_f32_e32 v68, 0xbe903f40, v56
	v_mov_b32_e32 v29, v68
	v_mul_f32_e32 v69, 0x3f0a6770, v60
	v_fmac_f32_e32 v29, 0xbf75a155, v40
	v_mov_b32_e32 v30, v69
	v_add_f32_e32 v29, v1, v29
	v_fmac_f32_e32 v30, 0x3f575c64, v42
	v_mul_f32_e32 v70, 0xbf4178ce, v64
	v_add_f32_e32 v29, v30, v29
	v_mov_b32_e32 v30, v70
	v_fmac_f32_e32 v30, 0xbf27a4f4, v44
	v_mul_f32_e32 v71, 0x3f68dda4, v66
	v_add_f32_e32 v29, v30, v29
	v_mov_b32_e32 v30, v71
	;; [unrolled: 4-line block ×3, first 2 shown]
	v_fmac_f32_e32 v30, 0xbe11bafb, v47
	v_mul_f32_e32 v73, 0xbe903f40, v52
	v_add_f32_e32 v30, v30, v29
	v_fma_f32 v29, v38, s14, -v73
	v_mul_f32_e32 v74, 0x3f0a6770, v53
	v_add_f32_e32 v29, v0, v29
	v_fma_f32 v75, v39, s6, -v74
	v_add_f32_e32 v29, v75, v29
	v_mul_f32_e32 v75, 0xbf4178ce, v58
	v_add_f32_e32 v13, v1, v13
	v_fma_f32 v76, v41, s9, -v75
	v_add_f32_e32 v13, v13, v15
	v_add_f32_e32 v12, v0, v12
	v_mul_f32_e32 v15, 0x3f68dda4, v62
	v_add_f32_e32 v29, v76, v29
	v_add_f32_e32 v12, v12, v14
	v_fma_f32 v14, v43, s7, -v15
	v_mul_f32_e32 v76, 0xbf7d64f0, v65
	v_add_f32_e32 v14, v14, v29
	v_fma_f32 v29, v45, s8, -v76
	v_mul_f32_e32 v77, 0xbf4178ce, v56
	v_add_f32_e32 v29, v29, v14
	v_mov_b32_e32 v14, v77
	v_mul_f32_e32 v78, 0x3f7d64f0, v60
	v_fmac_f32_e32 v14, 0xbf27a4f4, v40
	v_mov_b32_e32 v79, v78
	v_add_f32_e32 v13, v13, v17
	v_mul_f32_e32 v17, 0xbf0a6770, v64
	v_add_f32_e32 v14, v1, v14
	v_fmac_f32_e32 v79, 0xbe11bafb, v42
	v_add_f32_e32 v12, v12, v16
	v_mov_b32_e32 v16, v17
	v_add_f32_e32 v14, v79, v14
	v_add_f32_e32 v12, v12, v18
	v_fmac_f32_e32 v16, 0x3f575c64, v44
	v_mul_f32_e32 v18, 0xbe903f40, v66
	v_add_f32_e32 v14, v16, v14
	v_mov_b32_e32 v16, v18
	v_fmac_f32_e32 v16, 0xbf75a155, v46
	v_mul_f32_e32 v79, 0xbf4178ce, v52
	v_add_f32_e32 v12, v12, v20
	v_add_f32_e32 v13, v13, v19
	;; [unrolled: 1-line block ×4, first 2 shown]
	v_fma_f32 v12, v38, s9, -v79
	v_mul_f32_e32 v20, 0x3f7d64f0, v53
	v_add_f32_e32 v13, v13, v21
	v_add_f32_e32 v12, v0, v12
	v_fma_f32 v21, v39, s8, -v20
	v_add_f32_e32 v13, v13, v23
	v_add_f32_e32 v12, v21, v12
	v_mul_f32_e32 v21, 0xbf0a6770, v58
	v_add_f32_e32 v8, v16, v8
	v_fma_f32 v22, v41, s6, -v21
	v_add_f32_e32 v9, v13, v9
	v_add_f32_e32 v8, v8, v10
	v_mul_f32_e32 v10, 0xbe903f40, v62
	v_add_f32_e32 v22, v22, v12
	v_add_f32_e32 v9, v9, v11
	v_fma_f32 v11, v43, s14, -v10
	v_add_f32_e32 v11, v11, v22
	v_mul_f32_e32 v22, 0x3f68dda4, v65
	v_fma_f32 v13, v45, s7, -v22
	v_mul_f32_e32 v23, 0xbf7d64f0, v56
	v_add_f32_e32 v11, v13, v11
	v_mov_b32_e32 v13, v23
	v_add_f32_e32 v4, v8, v4
	v_mul_f32_e32 v80, 0x3e903f40, v60
	v_fmac_f32_e32 v13, 0xbe11bafb, v40
	v_add_f32_e32 v5, v9, v5
	v_add_f32_e32 v4, v4, v6
	v_mov_b32_e32 v6, v80
	v_mul_f32_e32 v81, 0x3f68dda4, v64
	v_add_f32_e32 v13, v1, v13
	v_add_f32_e32 v5, v5, v7
	v_fmac_f32_e32 v6, 0xbf75a155, v42
	v_mov_b32_e32 v7, v81
	v_add_f32_e32 v6, v6, v13
	v_fmac_f32_e32 v7, 0x3ed4b147, v44
	v_mul_f32_e32 v82, 0xbf0a6770, v66
	v_add_f32_e32 v6, v7, v6
	v_mov_b32_e32 v7, v82
	v_fmac_f32_e32 v7, 0x3f575c64, v46
	v_mul_f32_e32 v83, 0xbf7d64f0, v52
	v_add_f32_e32 v6, v7, v6
	v_fma_f32 v7, v38, s8, -v83
	v_mul_f32_e32 v84, 0x3e903f40, v53
	v_add_f32_e32 v7, v0, v7
	v_fma_f32 v8, v39, s14, -v84
	;; [unrolled: 3-line block ×4, first 2 shown]
	v_mul_f32_e32 v87, 0xbf4178ce, v67
	v_add_f32_e32 v8, v8, v7
	v_mov_b32_e32 v7, v87
	v_fmac_f32_e32 v7, 0xbf27a4f4, v47
	v_mul_f32_e32 v88, 0xbf4178ce, v65
	v_add_f32_e32 v7, v7, v6
	v_fma_f32 v6, v45, s9, -v88
	v_mul_f32_e32 v56, 0xbf68dda4, v56
	v_add_f32_e32 v6, v6, v8
	v_mov_b32_e32 v8, v56
	v_mul_f32_e32 v60, 0xbf4178ce, v60
	v_fmac_f32_e32 v8, 0x3ed4b147, v40
	v_mov_b32_e32 v9, v60
	v_add_f32_e32 v8, v1, v8
	v_fmac_f32_e32 v9, 0xbf27a4f4, v42
	v_mul_f32_e32 v64, 0x3e903f40, v64
	v_add_f32_e32 v8, v9, v8
	v_mov_b32_e32 v9, v64
	v_fmac_f32_e32 v9, 0xbf75a155, v44
	v_mul_f32_e32 v66, 0x3f7d64f0, v66
	v_add_f32_e32 v8, v9, v8
	v_mov_b32_e32 v9, v66
	v_fmac_f32_e32 v9, 0xbe11bafb, v46
	v_mul_f32_e32 v52, 0xbf68dda4, v52
	v_add_f32_e32 v8, v9, v8
	v_fma_f32 v9, v38, s7, -v52
	v_mul_f32_e32 v53, 0xbf4178ce, v53
	v_add_f32_e32 v9, v0, v9
	v_fma_f32 v13, v39, s9, -v53
	;; [unrolled: 3-line block ×3, first 2 shown]
	v_mul_f32_e32 v62, 0x3f7d64f0, v62
	v_mul_f32_e32 v19, 0x3f68dda4, v67
	v_add_f32_e32 v9, v13, v9
	v_fma_f32 v13, v43, s8, -v62
	v_mul_f32_e32 v67, 0x3f0a6770, v67
	v_add_f32_e32 v13, v13, v9
	v_mov_b32_e32 v9, v67
	v_fmac_f32_e32 v9, 0x3f575c64, v47
	v_mul_f32_e32 v65, 0x3f0a6770, v65
	v_mov_b32_e32 v12, v19
	v_add_f32_e32 v9, v9, v8
	v_fma_f32 v8, v45, s6, -v65
	v_fmac_f32_e32 v12, 0x3ed4b147, v47
	v_add_f32_e32 v8, v8, v13
	v_mul_f32_e32 v13, 0x3f575c64, v40
	v_mul_f32_e32 v16, 0x3f575c64, v38
	v_add_f32_e32 v12, v12, v14
	v_add_f32_e32 v13, v50, v13
	v_mul_f32_e32 v14, 0x3ed4b147, v42
	v_sub_f32_e32 v16, v16, v48
	v_mul_f32_e32 v48, 0x3ed4b147, v39
	v_add_f32_e32 v14, v54, v14
	v_add_f32_e32 v13, v1, v13
	v_sub_f32_e32 v48, v48, v49
	v_add_f32_e32 v16, v0, v16
	v_add_f32_e32 v13, v14, v13
	v_mul_f32_e32 v14, 0xbe11bafb, v44
	v_add_f32_e32 v16, v48, v16
	v_mul_f32_e32 v48, 0xbe11bafb, v41
	v_add_f32_e32 v14, v57, v14
	v_sub_f32_e32 v48, v48, v51
	v_add_f32_e32 v13, v14, v13
	v_mul_f32_e32 v14, 0xbf27a4f4, v46
	v_add_f32_e32 v16, v48, v16
	v_mul_f32_e32 v48, 0xbf27a4f4, v43
	v_add_f32_e32 v14, v61, v14
	v_sub_f32_e32 v48, v48, v55
	;; [unrolled: 6-line block ×3, first 2 shown]
	v_add_f32_e32 v14, v14, v13
	v_add_f32_e32 v13, v48, v16
	v_fma_f32 v16, v40, s14, -v68
	v_add_f32_e32 v16, v1, v16
	v_fma_f32 v48, v42, s6, -v69
	;; [unrolled: 2-line block ×5, first 2 shown]
	v_fmac_f32_e32 v73, 0xbf75a155, v38
	v_add_f32_e32 v16, v48, v16
	v_add_f32_e32 v48, v0, v73
	v_fmac_f32_e32 v74, 0x3f575c64, v39
	v_add_f32_e32 v48, v74, v48
	v_fmac_f32_e32 v75, 0xbf27a4f4, v41
	;; [unrolled: 2-line block ×3, first 2 shown]
	v_add_f32_e32 v15, v15, v48
	v_fma_f32 v48, v40, s9, -v77
	v_add_f32_e32 v48, v1, v48
	v_fma_f32 v49, v42, s8, -v78
	;; [unrolled: 2-line block ×5, first 2 shown]
	v_fmac_f32_e32 v79, 0xbf27a4f4, v38
	v_add_f32_e32 v18, v18, v17
	v_add_f32_e32 v17, v0, v79
	v_fmac_f32_e32 v20, 0xbe11bafb, v39
	v_add_f32_e32 v17, v20, v17
	v_fmac_f32_e32 v21, 0x3f575c64, v41
	;; [unrolled: 2-line block ×4, first 2 shown]
	v_add_f32_e32 v17, v22, v10
	v_fma_f32 v10, v40, s8, -v23
	v_add_f32_e32 v10, v1, v10
	v_fma_f32 v19, v42, s14, -v80
	;; [unrolled: 2-line block ×5, first 2 shown]
	v_fmac_f32_e32 v83, 0xbe11bafb, v38
	v_add_f32_e32 v20, v19, v10
	v_add_f32_e32 v10, v0, v83
	v_fmac_f32_e32 v84, 0xbf75a155, v39
	v_add_f32_e32 v10, v84, v10
	v_fmac_f32_e32 v85, 0x3ed4b147, v41
	;; [unrolled: 2-line block ×4, first 2 shown]
	v_add_f32_e32 v19, v88, v10
	v_fma_f32 v10, v40, s7, -v56
	v_add_f32_e32 v1, v1, v10
	v_fma_f32 v10, v42, s9, -v60
	;; [unrolled: 2-line block ×3, first 2 shown]
	v_fmac_f32_e32 v52, 0x3ed4b147, v38
	v_add_f32_e32 v1, v10, v1
	v_fma_f32 v10, v46, s8, -v66
	v_add_f32_e32 v0, v0, v52
	v_fmac_f32_e32 v53, 0xbf27a4f4, v39
	v_add_f32_e32 v1, v10, v1
	v_fma_f32 v10, v47, s6, -v67
	v_add_f32_e32 v0, v53, v0
	v_fmac_f32_e32 v58, 0xbf75a155, v41
	v_add_f32_e32 v1, v10, v1
	v_add_f32_e32 v0, v58, v0
	v_fmac_f32_e32 v62, 0xbe11bafb, v43
	v_mul_u32_u24_e32 v10, 0x50, v28
	v_fmac_f32_e32 v76, 0xbe11bafb, v45
	v_add_f32_e32 v0, v62, v0
	v_fmac_f32_e32 v65, 0x3f575c64, v45
	v_add3_u32 v10, v36, v10, v37
	v_add_f32_e32 v15, v76, v15
	v_add_f32_e32 v0, v65, v0
	ds_write2_b64 v10, v[4:5], v[13:14] offset1:1
	ds_write2_b64 v10, v[8:9], v[6:7] offset0:2 offset1:3
	ds_write2_b64 v10, v[11:12], v[29:30] offset0:4 offset1:5
	;; [unrolled: 1-line block ×4, first 2 shown]
	ds_write_b64 v10, v[2:3] offset:80
.LBB0_14:
	s_or_b64 exec, exec, s[4:5]
	s_movk_i32 s0, 0x75
	v_mul_lo_u16_sdwa v0, v28, s0 dst_sel:DWORD dst_unused:UNUSED_PAD src0_sel:BYTE_0 src1_sel:DWORD
	v_sub_u16_sdwa v1, v28, v0 dst_sel:DWORD dst_unused:UNUSED_PAD src0_sel:DWORD src1_sel:BYTE_1
	v_lshrrev_b16_e32 v1, 1, v1
	v_and_b32_e32 v1, 0x7f, v1
	v_add_u16_sdwa v0, v1, v0 dst_sel:DWORD dst_unused:UNUSED_PAD src0_sel:DWORD src1_sel:BYTE_1
	v_lshrrev_b16_e32 v52, 3, v0
	v_mul_lo_u16_e32 v0, 11, v52
	v_sub_u16_e32 v53, v28, v0
	v_mov_b32_e32 v0, 9
	v_mul_u32_u24_sdwa v0, v53, v0 dst_sel:DWORD dst_unused:UNUSED_PAD src0_sel:BYTE_0 src1_sel:DWORD
	v_lshlrev_b32_e32 v20, 3, v0
	s_load_dwordx2 s[4:5], s[2:3], 0x0
	s_waitcnt lgkmcnt(0)
	s_barrier
	global_load_dwordx4 v[4:7], v20, s[12:13]
	global_load_dwordx4 v[8:11], v20, s[12:13] offset:16
	global_load_dwordx4 v[12:15], v20, s[12:13] offset:32
	;; [unrolled: 1-line block ×3, first 2 shown]
	global_load_dwordx2 v[0:1], v20, s[12:13] offset:64
	ds_read2_b64 v[20:23], v34 offset0:33 offset1:66
	ds_read2_b64 v[38:41], v34 offset0:99 offset1:132
	;; [unrolled: 1-line block ×3, first 2 shown]
	v_add_u32_e32 v54, 0x400, v34
	ds_read_b64 v[29:30], v32
	ds_read_b64 v[50:51], v34 offset:2376
	ds_read2_b64 v[46:49], v54 offset0:103 offset1:136
	s_mov_b32 s2, 0x3f737871
	s_mov_b32 s0, 0xbf737871
	;; [unrolled: 1-line block ×4, first 2 shown]
	s_waitcnt vmcnt(0) lgkmcnt(0)
	s_barrier
	v_mul_f32_e32 v55, v5, v21
	v_mul_f32_e32 v56, v5, v20
	;; [unrolled: 1-line block ×10, first 2 shown]
	v_fma_f32 v20, v4, v20, -v55
	v_fmac_f32_e32 v56, v4, v21
	v_fma_f32 v4, v6, v22, -v5
	v_fmac_f32_e32 v7, v6, v23
	;; [unrolled: 2-line block ×3, first 2 shown]
	v_fma_f32 v10, v44, v14, -v60
	v_mul_f32_e32 v57, v9, v39
	v_mul_f32_e32 v59, v13, v43
	;; [unrolled: 1-line block ×3, first 2 shown]
	v_fmac_f32_e32 v15, v45, v14
	v_fma_f32 v14, v48, v18, -v62
	v_fmac_f32_e32 v19, v49, v18
	v_add_f32_e32 v18, v6, v10
	v_mul_f32_e32 v9, v9, v38
	v_fma_f32 v5, v8, v38, -v57
	v_fmac_f32_e32 v13, v12, v43
	v_sub_f32_e32 v23, v4, v6
	v_sub_f32_e32 v38, v14, v10
	v_fma_f32 v43, -0.5, v18, v29
	v_sub_f32_e32 v21, v7, v19
	v_add_f32_e32 v18, v23, v38
	v_mov_b32_e32 v38, v43
	v_fmac_f32_e32 v9, v8, v39
	v_sub_f32_e32 v22, v11, v15
	v_add_f32_e32 v39, v4, v14
	v_fmac_f32_e32 v43, 0xbf737871, v21
	v_fmac_f32_e32 v38, 0x3f737871, v21
	v_fma_f32 v8, v12, v42, -v59
	v_add_f32_e32 v42, v30, v7
	v_fma_f32 v23, -0.5, v39, v29
	v_fmac_f32_e32 v43, 0xbf167918, v22
	v_fmac_f32_e32 v38, 0x3f167918, v22
	v_mov_b32_e32 v39, v23
	v_fmac_f32_e32 v43, 0x3e9e377a, v18
	v_fmac_f32_e32 v38, 0x3e9e377a, v18
	v_add_f32_e32 v18, v42, v11
	v_mul_f32_e32 v61, v47, v17
	v_mul_f32_e32 v17, v46, v17
	;; [unrolled: 1-line block ×4, first 2 shown]
	v_fmac_f32_e32 v23, 0x3f737871, v22
	v_fmac_f32_e32 v39, 0xbf737871, v22
	v_add_f32_e32 v18, v18, v15
	v_fma_f32 v12, v46, v16, -v61
	v_fmac_f32_e32 v17, v47, v16
	v_fma_f32 v16, v50, v0, -v63
	v_fmac_f32_e32 v1, v51, v0
	v_add_f32_e32 v0, v29, v4
	v_sub_f32_e32 v40, v6, v4
	v_sub_f32_e32 v41, v10, v14
	v_fmac_f32_e32 v23, 0xbf167918, v21
	v_fmac_f32_e32 v39, 0x3f167918, v21
	v_add_f32_e32 v21, v18, v19
	v_add_f32_e32 v18, v11, v15
	;; [unrolled: 1-line block ×4, first 2 shown]
	v_fma_f32 v22, -0.5, v18, v30
	v_add_f32_e32 v0, v0, v10
	v_fmac_f32_e32 v23, 0x3e9e377a, v29
	v_fmac_f32_e32 v39, 0x3e9e377a, v29
	v_sub_f32_e32 v4, v4, v14
	v_mov_b32_e32 v29, v22
	v_add_f32_e32 v0, v0, v14
	v_fmac_f32_e32 v29, 0xbf737871, v4
	v_sub_f32_e32 v6, v6, v10
	v_sub_f32_e32 v10, v7, v11
	;; [unrolled: 1-line block ×3, first 2 shown]
	v_fmac_f32_e32 v22, 0x3f737871, v4
	v_fmac_f32_e32 v29, 0xbf167918, v6
	v_add_f32_e32 v10, v10, v14
	v_fmac_f32_e32 v22, 0x3f167918, v6
	v_fmac_f32_e32 v29, 0x3e9e377a, v10
	;; [unrolled: 1-line block ×3, first 2 shown]
	v_add_f32_e32 v10, v7, v19
	v_fmac_f32_e32 v30, -0.5, v10
	v_mov_b32_e32 v40, v30
	v_fmac_f32_e32 v40, 0x3f737871, v6
	v_fmac_f32_e32 v30, 0xbf737871, v6
	;; [unrolled: 1-line block ×4, first 2 shown]
	v_add_f32_e32 v4, v20, v5
	v_add_f32_e32 v4, v4, v8
	;; [unrolled: 1-line block ×3, first 2 shown]
	v_sub_f32_e32 v7, v11, v7
	v_sub_f32_e32 v10, v15, v19
	v_add_f32_e32 v14, v4, v16
	v_add_f32_e32 v4, v8, v12
	;; [unrolled: 1-line block ×3, first 2 shown]
	v_fma_f32 v15, -0.5, v4, v20
	v_fmac_f32_e32 v40, 0x3e9e377a, v7
	v_fmac_f32_e32 v30, 0x3e9e377a, v7
	v_sub_f32_e32 v4, v9, v1
	v_mov_b32_e32 v7, v15
	v_fmac_f32_e32 v7, 0x3f737871, v4
	v_sub_f32_e32 v6, v13, v17
	v_sub_f32_e32 v10, v5, v8
	;; [unrolled: 1-line block ×3, first 2 shown]
	v_fmac_f32_e32 v15, 0xbf737871, v4
	v_fmac_f32_e32 v7, 0x3f167918, v6
	v_add_f32_e32 v10, v10, v11
	v_fmac_f32_e32 v15, 0xbf167918, v6
	v_fmac_f32_e32 v7, 0x3e9e377a, v10
	;; [unrolled: 1-line block ×3, first 2 shown]
	v_add_f32_e32 v10, v5, v16
	v_fmac_f32_e32 v20, -0.5, v10
	v_mov_b32_e32 v11, v20
	v_fmac_f32_e32 v11, 0xbf737871, v6
	v_fmac_f32_e32 v20, 0x3f737871, v6
	;; [unrolled: 1-line block ×4, first 2 shown]
	v_add_f32_e32 v4, v56, v9
	v_add_f32_e32 v4, v4, v13
	v_add_f32_e32 v4, v4, v17
	v_sub_f32_e32 v10, v8, v5
	v_sub_f32_e32 v18, v12, v16
	v_add_f32_e32 v19, v4, v1
	v_add_f32_e32 v4, v13, v17
	;; [unrolled: 1-line block ×3, first 2 shown]
	v_fma_f32 v18, -0.5, v4, v56
	v_sub_f32_e32 v4, v5, v16
	v_mov_b32_e32 v16, v18
	v_fmac_f32_e32 v16, 0xbf737871, v4
	v_sub_f32_e32 v5, v8, v12
	v_sub_f32_e32 v6, v9, v13
	v_sub_f32_e32 v8, v1, v17
	v_fmac_f32_e32 v18, 0x3f737871, v4
	v_fmac_f32_e32 v16, 0xbf167918, v5
	v_add_f32_e32 v6, v6, v8
	v_fmac_f32_e32 v18, 0x3f167918, v5
	v_fmac_f32_e32 v16, 0x3e9e377a, v6
	;; [unrolled: 1-line block ×3, first 2 shown]
	v_add_f32_e32 v6, v9, v1
	v_fmac_f32_e32 v56, -0.5, v6
	v_mov_b32_e32 v41, v56
	v_fmac_f32_e32 v41, 0x3f737871, v5
	v_sub_f32_e32 v6, v13, v9
	v_sub_f32_e32 v1, v17, v1
	v_fmac_f32_e32 v41, 0xbf167918, v4
	v_add_f32_e32 v1, v6, v1
	v_fmac_f32_e32 v56, 0xbf737871, v5
	v_fmac_f32_e32 v20, 0x3e9e377a, v10
	;; [unrolled: 1-line block ×6, first 2 shown]
	v_mul_f32_e32 v17, 0x3f737871, v41
	v_mul_f32_e32 v5, 0x3e9e377a, v20
	;; [unrolled: 1-line block ×3, first 2 shown]
	v_fmac_f32_e32 v17, 0x3e9e377a, v11
	v_fma_f32 v42, v56, s2, -v5
	v_mul_f32_e32 v46, 0xbf737871, v11
	v_mul_f32_e32 v11, 0x3e9e377a, v56
	;; [unrolled: 1-line block ×3, first 2 shown]
	v_fmac_f32_e32 v1, 0x3f4f1bbd, v7
	v_add_f32_e32 v10, v23, v42
	v_mul_f32_e32 v5, 0x3f4f1bbd, v15
	v_mul_f32_e32 v45, 0xbf167918, v7
	v_fmac_f32_e32 v46, 0x3e9e377a, v41
	v_fma_f32 v41, v20, s0, -v11
	v_fma_f32 v47, v15, s1, -v13
	v_sub_f32_e32 v20, v23, v42
	s_movk_i32 s0, 0x370
	v_mov_b32_e32 v23, 3
	v_add_f32_e32 v6, v38, v1
	v_fma_f32 v44, v18, s3, -v5
	v_fmac_f32_e32 v45, 0x3f4f1bbd, v16
	v_add_f32_e32 v13, v22, v47
	v_sub_f32_e32 v16, v38, v1
	v_sub_f32_e32 v1, v22, v47
	v_mad_u32_u24 v22, v52, s0, 0
	v_lshlrev_b32_sdwa v23, v23, v53 dst_sel:DWORD dst_unused:UNUSED_PAD src0_sel:DWORD src1_sel:BYTE_0
	v_add_f32_e32 v4, v0, v14
	v_add_f32_e32 v8, v39, v17
	;; [unrolled: 1-line block ×7, first 2 shown]
	v_sub_f32_e32 v14, v0, v14
	v_sub_f32_e32 v18, v39, v17
	;; [unrolled: 1-line block ×5, first 2 shown]
	v_add3_u32 v22, v22, v23, v37
	v_sub_f32_e32 v0, v43, v44
	v_sub_f32_e32 v21, v30, v41
	ds_write2_b64 v22, v[4:5], v[6:7] offset1:11
	ds_write2_b64 v22, v[8:9], v[10:11] offset0:22 offset1:33
	ds_write2_b64 v22, v[12:13], v[14:15] offset0:44 offset1:55
	;; [unrolled: 1-line block ×4, first 2 shown]
	s_waitcnt lgkmcnt(0)
	s_barrier
	ds_read_b64 v[22:23], v32
	ds_read2_b64 v[12:15], v34 offset0:110 offset1:143
	ds_read2_b64 v[8:11], v34 offset0:176 offset1:220
	;; [unrolled: 1-line block ×4, first 2 shown]
	v_cmp_gt_u32_e64 s[0:1], 11, v28
                                        ; implicit-def: $vgpr21
	s_and_saveexec_b64 s[2:3], s[0:1]
	s_cbranch_execz .LBB0_16
; %bb.15:
	ds_read2_b64 v[0:3], v34 offset0:99 offset1:209
	ds_read_b64 v[20:21], v34 offset:2552
.LBB0_16:
	s_or_b64 exec, exec, s[2:3]
	v_lshlrev_b32_e32 v29, 1, v28
	v_mov_b32_e32 v30, 0
	v_lshlrev_b64 v[37:38], 3, v[29:30]
	v_add_u32_e32 v41, 0x42, v29
	v_mov_b32_e32 v42, v30
	v_mov_b32_e32 v47, s13
	v_add_co_u32_e64 v37, s[2:3], s12, v37
	v_lshlrev_b64 v[41:42], 3, v[41:42]
	v_addc_co_u32_e64 v38, s[2:3], v47, v38, s[2:3]
	v_add_u32_e32 v29, 0x84, v29
	v_add_co_u32_e64 v41, s[2:3], s12, v41
	v_lshlrev_b64 v[45:46], 3, v[29:30]
	v_addc_co_u32_e64 v42, s[2:3], v47, v42, s[2:3]
	v_add_co_u32_e64 v45, s[2:3], s12, v45
	global_load_dwordx4 v[37:40], v[37:38], off offset:792
	v_addc_co_u32_e64 v46, s[2:3], v47, v46, s[2:3]
	global_load_dwordx4 v[41:44], v[41:42], off offset:792
	v_lshl_add_u32 v29, v35, 3, v36
	global_load_dwordx4 v[45:48], v[45:46], off offset:792
	s_waitcnt vmcnt(0) lgkmcnt(0)
	s_barrier
	v_mul_f32_e32 v35, v38, v13
	v_mul_f32_e32 v36, v38, v12
	;; [unrolled: 1-line block ×4, first 2 shown]
	v_fma_f32 v12, v37, v12, -v35
	v_fmac_f32_e32 v36, v37, v13
	v_fma_f32 v10, v39, v10, -v38
	v_fmac_f32_e32 v40, v39, v11
	v_mul_f32_e32 v11, v42, v15
	v_mul_f32_e32 v13, v42, v14
	;; [unrolled: 1-line block ×5, first 2 shown]
	v_fma_f32 v11, v41, v14, -v11
	v_fmac_f32_e32 v13, v41, v15
	v_fma_f32 v14, v43, v16, -v35
	v_fmac_f32_e32 v39, v45, v9
	v_add_f32_e32 v9, v12, v10
	v_add_f32_e32 v15, v23, v36
	v_mul_f32_e32 v37, v44, v16
	v_mul_f32_e32 v42, v48, v19
	v_fma_f32 v35, v45, v8, -v38
	v_add_f32_e32 v8, v22, v12
	v_fma_f32 v22, -0.5, v9, v22
	v_add_f32_e32 v9, v15, v40
	v_add_f32_e32 v15, v11, v14
	v_mul_f32_e32 v44, v48, v18
	v_fmac_f32_e32 v37, v43, v17
	v_fma_f32 v38, v47, v18, -v42
	v_sub_f32_e32 v16, v36, v40
	v_sub_f32_e32 v18, v12, v10
	v_add_f32_e32 v8, v8, v10
	v_add_f32_e32 v12, v4, v11
	v_mov_b32_e32 v10, v22
	v_fma_f32 v4, -0.5, v15, v4
	v_fmac_f32_e32 v44, v47, v19
	v_add_f32_e32 v17, v36, v40
	v_sub_f32_e32 v19, v13, v37
	v_fmac_f32_e32 v22, 0xbf5db3d7, v16
	v_fmac_f32_e32 v10, 0x3f5db3d7, v16
	v_mov_b32_e32 v16, v4
	v_fmac_f32_e32 v23, -0.5, v17
	v_add_f32_e32 v36, v13, v37
	v_add_f32_e32 v42, v35, v38
	v_fmac_f32_e32 v4, 0xbf5db3d7, v19
	v_fmac_f32_e32 v16, 0x3f5db3d7, v19
	v_add_f32_e32 v19, v39, v44
	v_add_f32_e32 v17, v5, v13
	v_sub_f32_e32 v40, v11, v14
	v_add_f32_e32 v41, v6, v35
	v_add_f32_e32 v45, v7, v39
	v_mov_b32_e32 v11, v23
	v_fma_f32 v5, -0.5, v36, v5
	v_fma_f32 v6, -0.5, v42, v6
	v_fmac_f32_e32 v7, -0.5, v19
	v_sub_f32_e32 v43, v39, v44
	v_fmac_f32_e32 v23, 0x3f5db3d7, v18
	v_add_f32_e32 v13, v17, v37
	v_fmac_f32_e32 v11, 0xbf5db3d7, v18
	v_mov_b32_e32 v17, v5
	v_mov_b32_e32 v18, v6
	v_sub_f32_e32 v35, v35, v38
	v_mov_b32_e32 v19, v7
	v_add_f32_e32 v12, v12, v14
	v_add_f32_e32 v14, v41, v38
	;; [unrolled: 1-line block ×3, first 2 shown]
	v_fmac_f32_e32 v5, 0x3f5db3d7, v40
	v_fmac_f32_e32 v6, 0xbf5db3d7, v43
	;; [unrolled: 1-line block ×6, first 2 shown]
	ds_write_b64 v34, v[22:23] offset:1760
	ds_write2_b64 v34, v[8:9], v[12:13] offset1:33
	ds_write2_b64 v34, v[14:15], v[10:11] offset0:66 offset1:110
	ds_write2_b64 v29, v[16:17], v[18:19] offset0:143 offset1:176
	v_add_u32_e32 v8, 0x400, v29
	ds_write2_b64 v8, v[4:5], v[6:7] offset0:125 offset1:158
	s_and_saveexec_b64 s[2:3], s[0:1]
	s_cbranch_execz .LBB0_18
; %bb.17:
	v_mov_b32_e32 v4, 0x63
	v_cndmask_b32_e64 v4, -11, v4, s[0:1]
	v_add_lshl_u32 v29, v28, v4, 1
	v_lshlrev_b64 v[4:5], 3, v[29:30]
	v_mov_b32_e32 v6, s13
	v_add_co_u32_e64 v4, s[0:1], s12, v4
	v_addc_co_u32_e64 v5, s[0:1], v6, v5, s[0:1]
	global_load_dwordx4 v[4:7], v[4:5], off offset:792
	s_waitcnt vmcnt(0)
	v_mul_f32_e32 v8, v3, v5
	v_mul_f32_e32 v9, v21, v7
	;; [unrolled: 1-line block ×4, first 2 shown]
	v_fma_f32 v2, v2, v4, -v8
	v_fma_f32 v8, v20, v6, -v9
	v_fmac_f32_e32 v5, v3, v4
	v_fmac_f32_e32 v7, v21, v6
	v_add_f32_e32 v3, v5, v7
	v_add_f32_e32 v9, v2, v8
	v_sub_f32_e32 v6, v2, v8
	v_add_f32_e32 v4, v1, v5
	v_sub_f32_e32 v10, v5, v7
	v_add_f32_e32 v2, v0, v2
	v_fma_f32 v1, -0.5, v3, v1
	v_fma_f32 v0, -0.5, v9, v0
	v_add_f32_e32 v3, v4, v7
	v_add_f32_e32 v2, v2, v8
	v_mov_b32_e32 v5, v1
	v_fmac_f32_e32 v1, 0xbf5db3d7, v6
	v_mov_b32_e32 v4, v0
	v_fmac_f32_e32 v0, 0x3f5db3d7, v10
	v_fmac_f32_e32 v5, 0x3f5db3d7, v6
	;; [unrolled: 1-line block ×3, first 2 shown]
	ds_write2_b64 v34, v[2:3], v[0:1] offset0:99 offset1:209
	ds_write_b64 v34, v[4:5] offset:2552
.LBB0_18:
	s_or_b64 exec, exec, s[2:3]
	s_waitcnt lgkmcnt(0)
	s_barrier
	ds_read_b64 v[2:3], v32
	v_sub_u32_e32 v6, v31, v33
	v_cmp_ne_u32_e64 s[0:1], 0, v28
                                        ; implicit-def: $vgpr0
                                        ; implicit-def: $vgpr7
                                        ; implicit-def: $vgpr8
                                        ; implicit-def: $vgpr4_vgpr5
	s_and_saveexec_b64 s[2:3], s[0:1]
	s_xor_b64 s[2:3], exec, s[2:3]
	s_cbranch_execz .LBB0_20
; %bb.19:
	v_mov_b32_e32 v29, 0
	v_lshlrev_b64 v[0:1], 3, v[28:29]
	v_mov_b32_e32 v4, s13
	v_add_co_u32_e64 v0, s[0:1], s12, v0
	v_addc_co_u32_e64 v1, s[0:1], v4, v1, s[0:1]
	global_load_dwordx2 v[0:1], v[0:1], off offset:2552
	ds_read_b64 v[4:5], v6 offset:2640
	s_waitcnt lgkmcnt(0)
	v_add_f32_e32 v9, v4, v2
	v_sub_f32_e32 v2, v2, v4
	v_add_f32_e32 v7, v5, v3
	v_sub_f32_e32 v3, v3, v5
	v_mul_f32_e32 v2, 0.5, v2
	v_mul_f32_e32 v4, 0.5, v7
	;; [unrolled: 1-line block ×3, first 2 shown]
	s_waitcnt vmcnt(0)
	v_mul_f32_e32 v5, v1, v2
	v_fma_f32 v8, v4, v1, v3
	v_fma_f32 v1, v4, v1, -v3
	v_fma_f32 v7, 0.5, v9, v5
	v_fma_f32 v3, v9, 0.5, -v5
	v_fma_f32 v8, -v0, v2, v8
	v_fma_f32 v1, -v0, v2, v1
	v_fmac_f32_e32 v7, v0, v4
	v_fma_f32 v0, -v0, v4, v3
	v_mov_b32_e32 v4, v28
	v_mov_b32_e32 v5, v29
                                        ; implicit-def: $vgpr2_vgpr3
.LBB0_20:
	s_andn2_saveexec_b64 s[0:1], s[2:3]
	s_cbranch_execz .LBB0_22
; %bb.21:
	ds_read_b32 v1, v31 offset:1324
	v_mov_b32_e32 v4, 0
	s_waitcnt lgkmcnt(1)
	v_add_f32_e32 v7, v2, v3
	v_sub_f32_e32 v0, v2, v3
	v_mov_b32_e32 v5, 0
	s_waitcnt lgkmcnt(0)
	v_xor_b32_e32 v1, 0x80000000, v1
	v_mov_b32_e32 v8, 0
	ds_write_b32 v31, v1 offset:1324
	v_mov_b32_e32 v1, 0
.LBB0_22:
	s_or_b64 exec, exec, s[0:1]
	s_add_u32 s0, s12, 0x9f8
	s_waitcnt lgkmcnt(0)
	v_lshlrev_b64 v[2:3], 3, v[4:5]
	s_addc_u32 s1, s13, 0
	v_mov_b32_e32 v4, s1
	v_add_co_u32_e64 v2, s[0:1], s0, v2
	v_addc_co_u32_e64 v3, s[0:1], v4, v3, s[0:1]
	global_load_dwordx2 v[4:5], v[2:3], off offset:264
	global_load_dwordx2 v[9:10], v[2:3], off offset:528
	;; [unrolled: 1-line block ×3, first 2 shown]
	ds_write2_b32 v32, v7, v8 offset1:1
	ds_write_b64 v6, v[0:1] offset:2640
	ds_read_b64 v[0:1], v32 offset:264
	ds_read_b64 v[7:8], v6 offset:2376
	global_load_dwordx2 v[2:3], v[2:3], off offset:1056
	s_waitcnt lgkmcnt(0)
	v_add_f32_e32 v13, v0, v7
	v_sub_f32_e32 v0, v0, v7
	v_add_f32_e32 v14, v1, v8
	v_sub_f32_e32 v1, v1, v8
	v_mul_f32_e32 v0, 0.5, v0
	v_mul_f32_e32 v7, 0.5, v14
	;; [unrolled: 1-line block ×3, first 2 shown]
	s_waitcnt vmcnt(3)
	v_mul_f32_e32 v8, v5, v0
	v_fma_f32 v14, v7, v5, v1
	v_fma_f32 v1, v7, v5, -v1
	v_fma_f32 v5, 0.5, v13, v8
	v_fma_f32 v14, -v4, v0, v14
	v_fma_f32 v8, v13, 0.5, -v8
	v_fmac_f32_e32 v5, v4, v7
	v_fma_f32 v1, -v4, v0, v1
	v_fma_f32 v0, -v4, v7, v8
	ds_write2_b32 v32, v5, v14 offset0:66 offset1:67
	ds_write_b64 v6, v[0:1] offset:2376
	ds_read_b64 v[0:1], v32 offset:528
	ds_read_b64 v[4:5], v6 offset:2112
	s_waitcnt lgkmcnt(0)
	v_add_f32_e32 v7, v0, v4
	v_sub_f32_e32 v0, v0, v4
	v_add_f32_e32 v8, v1, v5
	v_sub_f32_e32 v1, v1, v5
	v_mul_f32_e32 v0, 0.5, v0
	v_mul_f32_e32 v4, 0.5, v8
	;; [unrolled: 1-line block ×3, first 2 shown]
	s_waitcnt vmcnt(2)
	v_mul_f32_e32 v5, v10, v0
	v_fma_f32 v8, v4, v10, v1
	v_fma_f32 v1, v4, v10, -v1
	v_fma_f32 v10, 0.5, v7, v5
	v_fma_f32 v8, -v9, v0, v8
	v_fma_f32 v5, v7, 0.5, -v5
	v_fmac_f32_e32 v10, v9, v4
	v_fma_f32 v1, -v9, v0, v1
	v_fma_f32 v0, -v9, v4, v5
	ds_write2_b32 v32, v10, v8 offset0:132 offset1:133
	ds_write_b64 v6, v[0:1] offset:2112
	ds_read_b64 v[0:1], v32 offset:792
	ds_read_b64 v[4:5], v6 offset:1848
	s_waitcnt lgkmcnt(0)
	v_add_f32_e32 v7, v0, v4
	v_sub_f32_e32 v0, v0, v4
	v_add_f32_e32 v8, v1, v5
	v_sub_f32_e32 v1, v1, v5
	v_mul_f32_e32 v0, 0.5, v0
	v_mul_f32_e32 v4, 0.5, v8
	;; [unrolled: 1-line block ×3, first 2 shown]
	s_waitcnt vmcnt(1)
	v_mul_f32_e32 v5, v12, v0
	v_fma_f32 v8, v4, v12, v1
	v_fma_f32 v9, 0.5, v7, v5
	v_fma_f32 v1, v4, v12, -v1
	v_fma_f32 v8, -v11, v0, v8
	v_fma_f32 v5, v7, 0.5, -v5
	v_fmac_f32_e32 v9, v11, v4
	v_fma_f32 v1, -v11, v0, v1
	v_fma_f32 v0, -v11, v4, v5
	ds_write2_b32 v32, v9, v8 offset0:198 offset1:199
	ds_write_b64 v6, v[0:1] offset:1848
	ds_read_b64 v[0:1], v32 offset:1056
	ds_read_b64 v[4:5], v6 offset:1584
	v_add_u32_e32 v7, 0x400, v32
	s_waitcnt lgkmcnt(0)
	v_add_f32_e32 v8, v0, v4
	v_sub_f32_e32 v0, v0, v4
	v_add_f32_e32 v9, v1, v5
	v_sub_f32_e32 v1, v1, v5
	v_mul_f32_e32 v0, 0.5, v0
	v_mul_f32_e32 v4, 0.5, v9
	;; [unrolled: 1-line block ×3, first 2 shown]
	s_waitcnt vmcnt(0)
	v_mul_f32_e32 v5, v3, v0
	v_fma_f32 v9, v4, v3, v1
	v_fma_f32 v1, v4, v3, -v1
	v_fma_f32 v3, 0.5, v8, v5
	v_fma_f32 v9, -v2, v0, v9
	v_fma_f32 v5, v8, 0.5, -v5
	v_fmac_f32_e32 v3, v2, v4
	v_fma_f32 v1, -v2, v0, v1
	v_fma_f32 v0, -v2, v4, v5
	ds_write2_b32 v7, v3, v9 offset0:8 offset1:9
	ds_write_b64 v6, v[0:1] offset:1584
	s_waitcnt lgkmcnt(0)
	s_barrier
	s_and_saveexec_b64 s[0:1], vcc
	s_cbranch_execz .LBB0_25
; %bb.23:
	v_mul_lo_u32 v2, s5, v26
	v_mul_lo_u32 v3, s4, v27
	v_mad_u64_u32 v[0:1], s[0:1], s4, v26, 0
	v_mov_b32_e32 v7, s11
	v_mov_b32_e32 v29, 0
	v_add3_u32 v1, v1, v3, v2
	v_lshlrev_b64 v[0:1], 3, v[0:1]
	v_lshl_add_u32 v2, v28, 3, v31
	v_add_co_u32_e32 v8, vcc, s10, v0
	v_addc_co_u32_e32 v7, vcc, v7, v1, vcc
	v_lshlrev_b64 v[0:1], 3, v[24:25]
	ds_read2_b64 v[3:6], v2 offset1:33
	v_add_co_u32_e32 v0, vcc, v8, v0
	v_addc_co_u32_e32 v1, vcc, v7, v1, vcc
	v_lshlrev_b64 v[7:8], 3, v[28:29]
	v_add_co_u32_e32 v7, vcc, v0, v7
	v_addc_co_u32_e32 v8, vcc, v1, v8, vcc
	s_waitcnt lgkmcnt(0)
	global_store_dwordx2 v[7:8], v[3:4], off
	v_add_u32_e32 v3, 33, v28
	v_mov_b32_e32 v4, v29
	v_lshlrev_b64 v[3:4], 3, v[3:4]
	v_add_u32_e32 v7, 0x42, v28
	v_add_co_u32_e32 v3, vcc, v0, v3
	v_addc_co_u32_e32 v4, vcc, v1, v4, vcc
	global_store_dwordx2 v[3:4], v[5:6], off
	v_mov_b32_e32 v8, v29
	ds_read2_b64 v[3:6], v2 offset0:66 offset1:99
	v_lshlrev_b64 v[7:8], 3, v[7:8]
	v_add_co_u32_e32 v7, vcc, v0, v7
	v_addc_co_u32_e32 v8, vcc, v1, v8, vcc
	s_waitcnt lgkmcnt(0)
	global_store_dwordx2 v[7:8], v[3:4], off
	v_add_u32_e32 v3, 0x63, v28
	v_mov_b32_e32 v4, v29
	v_lshlrev_b64 v[3:4], 3, v[3:4]
	v_add_u32_e32 v7, 0x84, v28
	v_add_co_u32_e32 v3, vcc, v0, v3
	v_addc_co_u32_e32 v4, vcc, v1, v4, vcc
	global_store_dwordx2 v[3:4], v[5:6], off
	v_mov_b32_e32 v8, v29
	ds_read2_b64 v[3:6], v2 offset0:132 offset1:165
	;; [unrolled: 14-line block ×3, first 2 shown]
	v_lshlrev_b64 v[7:8], 3, v[7:8]
	v_add_co_u32_e32 v7, vcc, v0, v7
	v_addc_co_u32_e32 v8, vcc, v1, v8, vcc
	s_waitcnt lgkmcnt(0)
	global_store_dwordx2 v[7:8], v[3:4], off
	v_add_u32_e32 v3, 0xe7, v28
	v_mov_b32_e32 v4, v29
	v_lshlrev_b64 v[3:4], 3, v[3:4]
	v_add_u32_e32 v7, 0x108, v28
	v_add_co_u32_e32 v3, vcc, v0, v3
	v_addc_co_u32_e32 v4, vcc, v1, v4, vcc
	global_store_dwordx2 v[3:4], v[5:6], off
	v_add_u32_e32 v3, 0x800, v2
	v_mov_b32_e32 v8, v29
	ds_read2_b64 v[3:6], v3 offset0:8 offset1:41
	v_lshlrev_b64 v[7:8], 3, v[7:8]
	v_add_co_u32_e32 v7, vcc, v0, v7
	v_addc_co_u32_e32 v8, vcc, v1, v8, vcc
	s_waitcnt lgkmcnt(0)
	global_store_dwordx2 v[7:8], v[3:4], off
	v_add_u32_e32 v3, 0x129, v28
	v_mov_b32_e32 v4, v29
	v_lshlrev_b64 v[3:4], 3, v[3:4]
	v_add_co_u32_e32 v3, vcc, v0, v3
	v_addc_co_u32_e32 v4, vcc, v1, v4, vcc
	v_cmp_eq_u32_e32 vcc, 32, v28
	global_store_dwordx2 v[3:4], v[5:6], off
	s_and_b64 exec, exec, vcc
	s_cbranch_execz .LBB0_25
; %bb.24:
	ds_read_b64 v[2:3], v2 offset:2384
	s_waitcnt lgkmcnt(0)
	global_store_dwordx2 v[0:1], v[2:3], off offset:2640
.LBB0_25:
	s_endpgm
	.section	.rodata,"a",@progbits
	.p2align	6, 0x0
	.amdhsa_kernel fft_rtc_fwd_len330_factors_11_10_3_wgs_99_tpt_33_sp_op_CI_CI_unitstride_sbrr_R2C_dirReg
		.amdhsa_group_segment_fixed_size 0
		.amdhsa_private_segment_fixed_size 0
		.amdhsa_kernarg_size 104
		.amdhsa_user_sgpr_count 6
		.amdhsa_user_sgpr_private_segment_buffer 1
		.amdhsa_user_sgpr_dispatch_ptr 0
		.amdhsa_user_sgpr_queue_ptr 0
		.amdhsa_user_sgpr_kernarg_segment_ptr 1
		.amdhsa_user_sgpr_dispatch_id 0
		.amdhsa_user_sgpr_flat_scratch_init 0
		.amdhsa_user_sgpr_private_segment_size 0
		.amdhsa_uses_dynamic_stack 0
		.amdhsa_system_sgpr_private_segment_wavefront_offset 0
		.amdhsa_system_sgpr_workgroup_id_x 1
		.amdhsa_system_sgpr_workgroup_id_y 0
		.amdhsa_system_sgpr_workgroup_id_z 0
		.amdhsa_system_sgpr_workgroup_info 0
		.amdhsa_system_vgpr_workitem_id 0
		.amdhsa_next_free_vgpr 89
		.amdhsa_next_free_sgpr 28
		.amdhsa_reserve_vcc 1
		.amdhsa_reserve_flat_scratch 0
		.amdhsa_float_round_mode_32 0
		.amdhsa_float_round_mode_16_64 0
		.amdhsa_float_denorm_mode_32 3
		.amdhsa_float_denorm_mode_16_64 3
		.amdhsa_dx10_clamp 1
		.amdhsa_ieee_mode 1
		.amdhsa_fp16_overflow 0
		.amdhsa_exception_fp_ieee_invalid_op 0
		.amdhsa_exception_fp_denorm_src 0
		.amdhsa_exception_fp_ieee_div_zero 0
		.amdhsa_exception_fp_ieee_overflow 0
		.amdhsa_exception_fp_ieee_underflow 0
		.amdhsa_exception_fp_ieee_inexact 0
		.amdhsa_exception_int_div_zero 0
	.end_amdhsa_kernel
	.text
.Lfunc_end0:
	.size	fft_rtc_fwd_len330_factors_11_10_3_wgs_99_tpt_33_sp_op_CI_CI_unitstride_sbrr_R2C_dirReg, .Lfunc_end0-fft_rtc_fwd_len330_factors_11_10_3_wgs_99_tpt_33_sp_op_CI_CI_unitstride_sbrr_R2C_dirReg
                                        ; -- End function
	.section	.AMDGPU.csdata,"",@progbits
; Kernel info:
; codeLenInByte = 7336
; NumSgprs: 32
; NumVgprs: 89
; ScratchSize: 0
; MemoryBound: 0
; FloatMode: 240
; IeeeMode: 1
; LDSByteSize: 0 bytes/workgroup (compile time only)
; SGPRBlocks: 3
; VGPRBlocks: 22
; NumSGPRsForWavesPerEU: 32
; NumVGPRsForWavesPerEU: 89
; Occupancy: 2
; WaveLimiterHint : 1
; COMPUTE_PGM_RSRC2:SCRATCH_EN: 0
; COMPUTE_PGM_RSRC2:USER_SGPR: 6
; COMPUTE_PGM_RSRC2:TRAP_HANDLER: 0
; COMPUTE_PGM_RSRC2:TGID_X_EN: 1
; COMPUTE_PGM_RSRC2:TGID_Y_EN: 0
; COMPUTE_PGM_RSRC2:TGID_Z_EN: 0
; COMPUTE_PGM_RSRC2:TIDIG_COMP_CNT: 0
	.type	__hip_cuid_5ace6299f373f4f8,@object ; @__hip_cuid_5ace6299f373f4f8
	.section	.bss,"aw",@nobits
	.globl	__hip_cuid_5ace6299f373f4f8
__hip_cuid_5ace6299f373f4f8:
	.byte	0                               ; 0x0
	.size	__hip_cuid_5ace6299f373f4f8, 1

	.ident	"AMD clang version 19.0.0git (https://github.com/RadeonOpenCompute/llvm-project roc-6.4.0 25133 c7fe45cf4b819c5991fe208aaa96edf142730f1d)"
	.section	".note.GNU-stack","",@progbits
	.addrsig
	.addrsig_sym __hip_cuid_5ace6299f373f4f8
	.amdgpu_metadata
---
amdhsa.kernels:
  - .args:
      - .actual_access:  read_only
        .address_space:  global
        .offset:         0
        .size:           8
        .value_kind:     global_buffer
      - .offset:         8
        .size:           8
        .value_kind:     by_value
      - .actual_access:  read_only
        .address_space:  global
        .offset:         16
        .size:           8
        .value_kind:     global_buffer
      - .actual_access:  read_only
        .address_space:  global
        .offset:         24
        .size:           8
        .value_kind:     global_buffer
      - .actual_access:  read_only
        .address_space:  global
        .offset:         32
        .size:           8
        .value_kind:     global_buffer
      - .offset:         40
        .size:           8
        .value_kind:     by_value
      - .actual_access:  read_only
        .address_space:  global
        .offset:         48
        .size:           8
        .value_kind:     global_buffer
      - .actual_access:  read_only
        .address_space:  global
        .offset:         56
        .size:           8
        .value_kind:     global_buffer
      - .offset:         64
        .size:           4
        .value_kind:     by_value
      - .actual_access:  read_only
        .address_space:  global
        .offset:         72
        .size:           8
        .value_kind:     global_buffer
      - .actual_access:  read_only
        .address_space:  global
        .offset:         80
        .size:           8
        .value_kind:     global_buffer
      - .actual_access:  read_only
        .address_space:  global
        .offset:         88
        .size:           8
        .value_kind:     global_buffer
      - .actual_access:  write_only
        .address_space:  global
        .offset:         96
        .size:           8
        .value_kind:     global_buffer
    .group_segment_fixed_size: 0
    .kernarg_segment_align: 8
    .kernarg_segment_size: 104
    .language:       OpenCL C
    .language_version:
      - 2
      - 0
    .max_flat_workgroup_size: 99
    .name:           fft_rtc_fwd_len330_factors_11_10_3_wgs_99_tpt_33_sp_op_CI_CI_unitstride_sbrr_R2C_dirReg
    .private_segment_fixed_size: 0
    .sgpr_count:     32
    .sgpr_spill_count: 0
    .symbol:         fft_rtc_fwd_len330_factors_11_10_3_wgs_99_tpt_33_sp_op_CI_CI_unitstride_sbrr_R2C_dirReg.kd
    .uniform_work_group_size: 1
    .uses_dynamic_stack: false
    .vgpr_count:     89
    .vgpr_spill_count: 0
    .wavefront_size: 64
amdhsa.target:   amdgcn-amd-amdhsa--gfx906
amdhsa.version:
  - 1
  - 2
...

	.end_amdgpu_metadata
